;; amdgpu-corpus repo=ROCm/rocFFT kind=compiled arch=gfx1030 opt=O3
	.text
	.amdgcn_target "amdgcn-amd-amdhsa--gfx1030"
	.amdhsa_code_object_version 6
	.protected	fft_rtc_fwd_len224_factors_7_2_2_2_2_2_wgs_64_tpt_16_halfLds_dp_ip_CI_unitstride_sbrr_C2R_dirReg ; -- Begin function fft_rtc_fwd_len224_factors_7_2_2_2_2_2_wgs_64_tpt_16_halfLds_dp_ip_CI_unitstride_sbrr_C2R_dirReg
	.globl	fft_rtc_fwd_len224_factors_7_2_2_2_2_2_wgs_64_tpt_16_halfLds_dp_ip_CI_unitstride_sbrr_C2R_dirReg
	.p2align	8
	.type	fft_rtc_fwd_len224_factors_7_2_2_2_2_2_wgs_64_tpt_16_halfLds_dp_ip_CI_unitstride_sbrr_C2R_dirReg,@function
fft_rtc_fwd_len224_factors_7_2_2_2_2_2_wgs_64_tpt_16_halfLds_dp_ip_CI_unitstride_sbrr_C2R_dirReg: ; @fft_rtc_fwd_len224_factors_7_2_2_2_2_2_wgs_64_tpt_16_halfLds_dp_ip_CI_unitstride_sbrr_C2R_dirReg
; %bb.0:
	s_clause 0x2
	s_load_dwordx4 s[8:11], s[4:5], 0x0
	s_load_dwordx2 s[2:3], s[4:5], 0x50
	s_load_dwordx2 s[12:13], s[4:5], 0x18
	v_lshrrev_b32_e32 v9, 4, v0
	v_mov_b32_e32 v3, 0
	v_mov_b32_e32 v1, 0
	;; [unrolled: 1-line block ×3, first 2 shown]
	v_lshl_or_b32 v5, s6, 2, v9
	v_mov_b32_e32 v6, v3
	s_waitcnt lgkmcnt(0)
	v_cmp_lt_u64_e64 s0, s[10:11], 2
	s_and_b32 vcc_lo, exec_lo, s0
	s_cbranch_vccnz .LBB0_8
; %bb.1:
	s_load_dwordx2 s[0:1], s[4:5], 0x10
	v_mov_b32_e32 v1, 0
	s_add_u32 s6, s12, 8
	v_mov_b32_e32 v2, 0
	s_addc_u32 s7, s13, 0
	s_mov_b64 s[16:17], 1
	s_waitcnt lgkmcnt(0)
	s_add_u32 s14, s0, 8
	s_addc_u32 s15, s1, 0
.LBB0_2:                                ; =>This Inner Loop Header: Depth=1
	s_load_dwordx2 s[18:19], s[14:15], 0x0
                                        ; implicit-def: $vgpr7_vgpr8
	s_mov_b32 s0, exec_lo
	s_waitcnt lgkmcnt(0)
	v_or_b32_e32 v4, s19, v6
	v_cmpx_ne_u64_e32 0, v[3:4]
	s_xor_b32 s1, exec_lo, s0
	s_cbranch_execz .LBB0_4
; %bb.3:                                ;   in Loop: Header=BB0_2 Depth=1
	v_cvt_f32_u32_e32 v4, s18
	v_cvt_f32_u32_e32 v7, s19
	s_sub_u32 s0, 0, s18
	s_subb_u32 s20, 0, s19
	v_fmac_f32_e32 v4, 0x4f800000, v7
	v_rcp_f32_e32 v4, v4
	v_mul_f32_e32 v4, 0x5f7ffffc, v4
	v_mul_f32_e32 v7, 0x2f800000, v4
	v_trunc_f32_e32 v7, v7
	v_fmac_f32_e32 v4, 0xcf800000, v7
	v_cvt_u32_f32_e32 v7, v7
	v_cvt_u32_f32_e32 v4, v4
	v_mul_lo_u32 v8, s0, v7
	v_mul_hi_u32 v10, s0, v4
	v_mul_lo_u32 v11, s20, v4
	v_add_nc_u32_e32 v8, v10, v8
	v_mul_lo_u32 v10, s0, v4
	v_add_nc_u32_e32 v8, v8, v11
	v_mul_hi_u32 v11, v4, v10
	v_mul_lo_u32 v12, v4, v8
	v_mul_hi_u32 v13, v4, v8
	v_mul_hi_u32 v14, v7, v10
	v_mul_lo_u32 v10, v7, v10
	v_mul_hi_u32 v15, v7, v8
	v_mul_lo_u32 v8, v7, v8
	v_add_co_u32 v11, vcc_lo, v11, v12
	v_add_co_ci_u32_e32 v12, vcc_lo, 0, v13, vcc_lo
	v_add_co_u32 v10, vcc_lo, v11, v10
	v_add_co_ci_u32_e32 v10, vcc_lo, v12, v14, vcc_lo
	v_add_co_ci_u32_e32 v11, vcc_lo, 0, v15, vcc_lo
	v_add_co_u32 v8, vcc_lo, v10, v8
	v_add_co_ci_u32_e32 v10, vcc_lo, 0, v11, vcc_lo
	v_add_co_u32 v4, vcc_lo, v4, v8
	v_add_co_ci_u32_e32 v7, vcc_lo, v7, v10, vcc_lo
	v_mul_hi_u32 v8, s0, v4
	v_mul_lo_u32 v11, s20, v4
	v_mul_lo_u32 v10, s0, v7
	v_add_nc_u32_e32 v8, v8, v10
	v_mul_lo_u32 v10, s0, v4
	v_add_nc_u32_e32 v8, v8, v11
	v_mul_hi_u32 v11, v4, v10
	v_mul_lo_u32 v12, v4, v8
	v_mul_hi_u32 v13, v4, v8
	v_mul_hi_u32 v14, v7, v10
	v_mul_lo_u32 v10, v7, v10
	v_mul_hi_u32 v15, v7, v8
	v_mul_lo_u32 v8, v7, v8
	v_add_co_u32 v11, vcc_lo, v11, v12
	v_add_co_ci_u32_e32 v12, vcc_lo, 0, v13, vcc_lo
	v_add_co_u32 v10, vcc_lo, v11, v10
	v_add_co_ci_u32_e32 v10, vcc_lo, v12, v14, vcc_lo
	v_add_co_ci_u32_e32 v11, vcc_lo, 0, v15, vcc_lo
	v_add_co_u32 v8, vcc_lo, v10, v8
	v_add_co_ci_u32_e32 v10, vcc_lo, 0, v11, vcc_lo
	v_add_co_u32 v4, vcc_lo, v4, v8
	v_add_co_ci_u32_e32 v12, vcc_lo, v7, v10, vcc_lo
	v_mul_hi_u32 v14, v5, v4
	v_mad_u64_u32 v[10:11], null, v6, v4, 0
	v_mad_u64_u32 v[7:8], null, v5, v12, 0
	;; [unrolled: 1-line block ×3, first 2 shown]
	v_add_co_u32 v4, vcc_lo, v14, v7
	v_add_co_ci_u32_e32 v7, vcc_lo, 0, v8, vcc_lo
	v_add_co_u32 v4, vcc_lo, v4, v10
	v_add_co_ci_u32_e32 v4, vcc_lo, v7, v11, vcc_lo
	v_add_co_ci_u32_e32 v7, vcc_lo, 0, v13, vcc_lo
	v_add_co_u32 v4, vcc_lo, v4, v12
	v_add_co_ci_u32_e32 v10, vcc_lo, 0, v7, vcc_lo
	v_mul_lo_u32 v11, s19, v4
	v_mad_u64_u32 v[7:8], null, s18, v4, 0
	v_mul_lo_u32 v12, s18, v10
	v_sub_co_u32 v7, vcc_lo, v5, v7
	v_add3_u32 v8, v8, v12, v11
	v_sub_nc_u32_e32 v11, v6, v8
	v_subrev_co_ci_u32_e64 v11, s0, s19, v11, vcc_lo
	v_add_co_u32 v12, s0, v4, 2
	v_add_co_ci_u32_e64 v13, s0, 0, v10, s0
	v_sub_co_u32 v14, s0, v7, s18
	v_sub_co_ci_u32_e32 v8, vcc_lo, v6, v8, vcc_lo
	v_subrev_co_ci_u32_e64 v11, s0, 0, v11, s0
	v_cmp_le_u32_e32 vcc_lo, s18, v14
	v_cmp_eq_u32_e64 s0, s19, v8
	v_cndmask_b32_e64 v14, 0, -1, vcc_lo
	v_cmp_le_u32_e32 vcc_lo, s19, v11
	v_cndmask_b32_e64 v15, 0, -1, vcc_lo
	v_cmp_le_u32_e32 vcc_lo, s18, v7
	;; [unrolled: 2-line block ×3, first 2 shown]
	v_cndmask_b32_e64 v16, 0, -1, vcc_lo
	v_cmp_eq_u32_e32 vcc_lo, s19, v11
	v_cndmask_b32_e64 v7, v16, v7, s0
	v_cndmask_b32_e32 v11, v15, v14, vcc_lo
	v_add_co_u32 v14, vcc_lo, v4, 1
	v_add_co_ci_u32_e32 v15, vcc_lo, 0, v10, vcc_lo
	v_cmp_ne_u32_e32 vcc_lo, 0, v11
	v_cndmask_b32_e32 v8, v15, v13, vcc_lo
	v_cndmask_b32_e32 v11, v14, v12, vcc_lo
	v_cmp_ne_u32_e32 vcc_lo, 0, v7
	v_cndmask_b32_e32 v8, v10, v8, vcc_lo
	v_cndmask_b32_e32 v7, v4, v11, vcc_lo
.LBB0_4:                                ;   in Loop: Header=BB0_2 Depth=1
	s_andn2_saveexec_b32 s0, s1
	s_cbranch_execz .LBB0_6
; %bb.5:                                ;   in Loop: Header=BB0_2 Depth=1
	v_cvt_f32_u32_e32 v4, s18
	s_sub_i32 s1, 0, s18
	v_rcp_iflag_f32_e32 v4, v4
	v_mul_f32_e32 v4, 0x4f7ffffe, v4
	v_cvt_u32_f32_e32 v4, v4
	v_mul_lo_u32 v7, s1, v4
	v_mul_hi_u32 v7, v4, v7
	v_add_nc_u32_e32 v4, v4, v7
	v_mul_hi_u32 v4, v5, v4
	v_mul_lo_u32 v7, v4, s18
	v_add_nc_u32_e32 v8, 1, v4
	v_sub_nc_u32_e32 v7, v5, v7
	v_subrev_nc_u32_e32 v10, s18, v7
	v_cmp_le_u32_e32 vcc_lo, s18, v7
	v_cndmask_b32_e32 v7, v7, v10, vcc_lo
	v_cndmask_b32_e32 v4, v4, v8, vcc_lo
	v_cmp_le_u32_e32 vcc_lo, s18, v7
	v_add_nc_u32_e32 v8, 1, v4
	v_cndmask_b32_e32 v7, v4, v8, vcc_lo
	v_mov_b32_e32 v8, v3
.LBB0_6:                                ;   in Loop: Header=BB0_2 Depth=1
	s_or_b32 exec_lo, exec_lo, s0
	s_load_dwordx2 s[0:1], s[6:7], 0x0
	v_mul_lo_u32 v4, v8, s18
	v_mul_lo_u32 v12, v7, s19
	v_mad_u64_u32 v[10:11], null, v7, s18, 0
	s_add_u32 s16, s16, 1
	s_addc_u32 s17, s17, 0
	s_add_u32 s6, s6, 8
	s_addc_u32 s7, s7, 0
	;; [unrolled: 2-line block ×3, first 2 shown]
	v_add3_u32 v4, v11, v12, v4
	v_sub_co_u32 v5, vcc_lo, v5, v10
	v_sub_co_ci_u32_e32 v4, vcc_lo, v6, v4, vcc_lo
	s_waitcnt lgkmcnt(0)
	v_mul_lo_u32 v6, s1, v5
	v_mul_lo_u32 v4, s0, v4
	v_mad_u64_u32 v[1:2], null, s0, v5, v[1:2]
	v_cmp_ge_u64_e64 s0, s[16:17], s[10:11]
	s_and_b32 vcc_lo, exec_lo, s0
	v_add3_u32 v2, v6, v2, v4
	s_cbranch_vccnz .LBB0_9
; %bb.7:                                ;   in Loop: Header=BB0_2 Depth=1
	v_mov_b32_e32 v5, v7
	v_mov_b32_e32 v6, v8
	s_branch .LBB0_2
.LBB0_8:
	v_mov_b32_e32 v8, v6
	v_mov_b32_e32 v7, v5
.LBB0_9:
	s_lshl_b64 s[0:1], s[10:11], 3
	s_add_u32 s0, s12, s0
	s_addc_u32 s1, s13, s1
	s_load_dwordx2 s[0:1], s[0:1], 0x0
	s_load_dwordx2 s[4:5], s[4:5], 0x20
	s_waitcnt lgkmcnt(0)
	v_mul_lo_u32 v3, s0, v8
	v_mul_lo_u32 v4, s1, v7
	v_mad_u64_u32 v[5:6], null, s0, v7, v[1:2]
	v_mul_u32_u24_e32 v2, 0xe1, v9
	v_cmp_gt_u64_e32 vcc_lo, s[4:5], v[7:8]
	v_lshlrev_b32_e32 v37, 4, v2
	v_add3_u32 v6, v4, v6, v3
	v_and_b32_e32 v4, 15, v0
	v_lshlrev_b64 v[34:35], 4, v[5:6]
	v_mov_b32_e32 v32, v4
	s_and_saveexec_b32 s1, vcc_lo
	s_cbranch_execz .LBB0_13
; %bb.10:
	v_lshlrev_b32_e32 v6, 4, v4
	v_add_co_u32 v3, s0, s2, v34
	v_add_co_ci_u32_e64 v5, s0, s3, v35, s0
	v_or_b32_e32 v31, 0x800, v6
	v_add_co_u32 v0, s0, v3, v6
	v_add_co_ci_u32_e64 v1, s0, 0, v5, s0
	v_or_b32_e32 v32, 0x900, v6
	v_or_b32_e32 v33, 0xa00, v6
	s_clause 0x7
	global_load_dwordx4 v[7:10], v[0:1], off
	global_load_dwordx4 v[11:14], v[0:1], off offset:256
	global_load_dwordx4 v[15:18], v[0:1], off offset:512
	;; [unrolled: 1-line block ×7, first 2 shown]
	v_add_co_u32 v0, s0, v3, v31
	v_add_co_ci_u32_e64 v1, s0, 0, v5, s0
	v_add_co_u32 v31, s0, v3, v32
	v_or_b32_e32 v36, 0xb00, v6
	v_add_co_ci_u32_e64 v32, s0, 0, v5, s0
	v_add_co_u32 v54, s0, v3, v33
	v_or_b32_e32 v46, 0xc00, v6
	;; [unrolled: 3-line block ×3, first 2 shown]
	v_add_co_ci_u32_e64 v59, s0, 0, v5, s0
	v_add_co_u32 v62, s0, v3, v46
	v_add_co_ci_u32_e64 v63, s0, 0, v5, s0
	v_add_co_u32 v66, s0, v3, v47
	v_add_co_ci_u32_e64 v67, s0, 0, v5, s0
	s_clause 0x5
	global_load_dwordx4 v[46:49], v[0:1], off
	global_load_dwordx4 v[50:53], v[31:32], off
	;; [unrolled: 1-line block ×6, first 2 shown]
	v_mov_b32_e32 v0, v4
	v_add3_u32 v6, 0, v37, v6
	v_mov_b32_e32 v1, v5
	s_mov_b32 s4, exec_lo
	s_waitcnt vmcnt(13)
	ds_write_b128 v6, v[7:10]
	s_waitcnt vmcnt(12)
	ds_write_b128 v6, v[11:14] offset:256
	s_waitcnt vmcnt(11)
	ds_write_b128 v6, v[15:18] offset:512
	;; [unrolled: 2-line block ×13, first 2 shown]
	v_cmpx_eq_u32_e32 15, v4
	s_cbranch_execz .LBB0_12
; %bb.11:
	v_add_co_u32 v0, s0, 0x800, v3
	v_add_co_ci_u32_e64 v1, s0, 0, v5, s0
	v_mov_b32_e32 v4, 15
	global_load_dwordx4 v[7:10], v[0:1], off offset:1536
	v_mov_b32_e32 v0, 15
	v_mov_b32_e32 v1, 0
	s_waitcnt vmcnt(0)
	ds_write_b128 v6, v[7:10] offset:3344
.LBB0_12:
	s_or_b32 exec_lo, exec_lo, s4
	v_mov_b32_e32 v32, v4
	v_mov_b32_e32 v5, v1
	;; [unrolled: 1-line block ×3, first 2 shown]
.LBB0_13:
	s_or_b32 exec_lo, exec_lo, s1
	v_lshl_add_u32 v36, v2, 4, 0
	v_lshlrev_b32_e32 v38, 4, v32
	s_waitcnt lgkmcnt(0)
	s_barrier
	buffer_gl0_inv
	v_cmp_ne_u32_e64 s0, 0, v32
	v_add_nc_u32_e32 v33, v36, v38
	v_sub_nc_u32_e32 v9, v36, v38
	v_lshlrev_b32_e32 v39, 4, v4
	s_add_u32 s4, s8, 0xd90
	ds_read_b64 v[5:6], v33
	ds_read_b64 v[7:8], v9 offset:3584
	s_addc_u32 s5, s9, 0
	s_waitcnt lgkmcnt(0)
	v_add_f64 v[0:1], v[5:6], v[7:8]
	v_add_f64 v[2:3], v[5:6], -v[7:8]
	s_and_saveexec_b32 s1, s0
	s_xor_b32 s0, exec_lo, s1
	s_cbranch_execz .LBB0_15
; %bb.14:
	global_load_dwordx4 v[10:13], v39, s[4:5]
	ds_read_b64 v[0:1], v9 offset:3592
	ds_read_b64 v[2:3], v33 offset:8
	v_add_f64 v[14:15], v[5:6], v[7:8]
	v_add_f64 v[16:17], v[5:6], -v[7:8]
	s_waitcnt lgkmcnt(0)
	v_add_f64 v[4:5], v[0:1], v[2:3]
	v_add_f64 v[0:1], v[2:3], -v[0:1]
	s_waitcnt vmcnt(0)
	v_fma_f64 v[2:3], v[16:17], v[12:13], v[14:15]
	v_fma_f64 v[6:7], -v[16:17], v[12:13], v[14:15]
	v_fma_f64 v[14:15], v[4:5], v[12:13], -v[0:1]
	v_fma_f64 v[12:13], v[4:5], v[12:13], v[0:1]
	v_fma_f64 v[0:1], -v[4:5], v[10:11], v[2:3]
	v_fma_f64 v[4:5], v[4:5], v[10:11], v[6:7]
	v_fma_f64 v[6:7], v[16:17], v[10:11], v[14:15]
	;; [unrolled: 1-line block ×3, first 2 shown]
	ds_write_b128 v9, v[4:7] offset:3584
.LBB0_15:
	s_andn2_saveexec_b32 s0, s0
	s_cbranch_execz .LBB0_17
; %bb.16:
	ds_read_b128 v[4:7], v36 offset:1792
	s_waitcnt lgkmcnt(0)
	v_add_f64 v[4:5], v[4:5], v[4:5]
	v_mul_f64 v[6:7], v[6:7], -2.0
	ds_write_b128 v36, v[4:7] offset:1792
.LBB0_17:
	s_or_b32 exec_lo, exec_lo, s0
	s_clause 0x2
	global_load_dwordx4 v[4:7], v38, s[4:5] offset:256
	global_load_dwordx4 v[10:13], v38, s[4:5] offset:512
	;; [unrolled: 1-line block ×3, first 2 shown]
	ds_write_b128 v33, v[0:3]
	ds_read_b128 v[0:3], v33 offset:256
	ds_read_b128 v[18:21], v9 offset:3328
	global_load_dwordx4 v[22:25], v38, s[4:5] offset:1024
	v_add3_u32 v40, 0, v38, v37
	s_mov_b32 s18, 0x37e14327
	s_mov_b32 s0, 0x36b3c0b5
	;; [unrolled: 1-line block ×17, first 2 shown]
	s_waitcnt lgkmcnt(0)
	v_add_f64 v[26:27], v[0:1], v[18:19]
	v_add_f64 v[28:29], v[20:21], v[2:3]
	v_add_f64 v[30:31], v[0:1], -v[18:19]
	v_add_f64 v[0:1], v[2:3], -v[20:21]
	s_mov_b32 s17, 0x3fdc38aa
	v_mul_lo_u16 v102, v32, 37
	v_mul_u32_u24_e32 v103, 0x70, v32
	v_or_b32_e32 v41, 16, v32
	s_waitcnt vmcnt(3)
	v_fma_f64 v[2:3], v[30:31], v[6:7], v[26:27]
	v_fma_f64 v[18:19], v[28:29], v[6:7], v[0:1]
	v_fma_f64 v[20:21], -v[30:31], v[6:7], v[26:27]
	v_fma_f64 v[6:7], v[28:29], v[6:7], -v[0:1]
	v_fma_f64 v[0:1], -v[28:29], v[4:5], v[2:3]
	v_fma_f64 v[2:3], v[30:31], v[4:5], v[18:19]
	v_fma_f64 v[18:19], v[28:29], v[4:5], v[20:21]
	;; [unrolled: 1-line block ×3, first 2 shown]
	ds_write_b128 v33, v[0:3] offset:256
	ds_write_b128 v9, v[18:21] offset:3328
	ds_read_b128 v[0:3], v33 offset:512
	ds_read_b128 v[4:7], v9 offset:3072
	global_load_dwordx4 v[18:21], v38, s[4:5] offset:1280
	s_waitcnt lgkmcnt(0)
	v_add_f64 v[26:27], v[0:1], v[4:5]
	v_add_f64 v[28:29], v[6:7], v[2:3]
	v_add_f64 v[30:31], v[0:1], -v[4:5]
	v_add_f64 v[0:1], v[2:3], -v[6:7]
	s_waitcnt vmcnt(3)
	v_fma_f64 v[2:3], v[30:31], v[12:13], v[26:27]
	v_fma_f64 v[4:5], v[28:29], v[12:13], v[0:1]
	v_fma_f64 v[6:7], -v[30:31], v[12:13], v[26:27]
	v_fma_f64 v[12:13], v[28:29], v[12:13], -v[0:1]
	v_fma_f64 v[0:1], -v[28:29], v[10:11], v[2:3]
	v_fma_f64 v[2:3], v[30:31], v[10:11], v[4:5]
	v_fma_f64 v[4:5], v[28:29], v[10:11], v[6:7]
	;; [unrolled: 1-line block ×3, first 2 shown]
	ds_write_b128 v33, v[0:3] offset:512
	ds_write_b128 v9, v[4:7] offset:3072
	ds_read_b128 v[0:3], v33 offset:768
	ds_read_b128 v[4:7], v9 offset:2816
	global_load_dwordx4 v[10:13], v38, s[4:5] offset:1536
	s_mov_b32 s5, 0xbfe77f67
	s_mov_b32 s4, s6
	s_waitcnt lgkmcnt(0)
	v_add_f64 v[26:27], v[0:1], v[4:5]
	v_add_f64 v[28:29], v[6:7], v[2:3]
	v_add_f64 v[30:31], v[0:1], -v[4:5]
	v_add_f64 v[0:1], v[2:3], -v[6:7]
	s_waitcnt vmcnt(3)
	v_fma_f64 v[2:3], v[30:31], v[16:17], v[26:27]
	v_fma_f64 v[4:5], v[28:29], v[16:17], v[0:1]
	v_fma_f64 v[6:7], -v[30:31], v[16:17], v[26:27]
	v_fma_f64 v[16:17], v[28:29], v[16:17], -v[0:1]
	v_fma_f64 v[0:1], -v[28:29], v[14:15], v[2:3]
	v_fma_f64 v[2:3], v[30:31], v[14:15], v[4:5]
	v_fma_f64 v[4:5], v[28:29], v[14:15], v[6:7]
	v_fma_f64 v[6:7], v[30:31], v[14:15], v[16:17]
	ds_write_b128 v33, v[0:3] offset:768
	ds_write_b128 v9, v[4:7] offset:2816
	ds_read_b128 v[0:3], v33 offset:1024
	ds_read_b128 v[4:7], v9 offset:2560
	s_waitcnt lgkmcnt(0)
	v_add_f64 v[14:15], v[0:1], v[4:5]
	v_add_f64 v[16:17], v[6:7], v[2:3]
	v_add_f64 v[26:27], v[0:1], -v[4:5]
	v_add_f64 v[0:1], v[2:3], -v[6:7]
	s_waitcnt vmcnt(2)
	v_fma_f64 v[2:3], v[26:27], v[24:25], v[14:15]
	v_fma_f64 v[4:5], v[16:17], v[24:25], v[0:1]
	v_fma_f64 v[6:7], -v[26:27], v[24:25], v[14:15]
	v_fma_f64 v[14:15], v[16:17], v[24:25], -v[0:1]
	v_fma_f64 v[0:1], -v[16:17], v[22:23], v[2:3]
	v_fma_f64 v[2:3], v[26:27], v[22:23], v[4:5]
	v_fma_f64 v[4:5], v[16:17], v[22:23], v[6:7]
	v_fma_f64 v[6:7], v[26:27], v[22:23], v[14:15]
	ds_write_b128 v33, v[0:3] offset:1024
	ds_write_b128 v9, v[4:7] offset:2560
	ds_read_b128 v[0:3], v33 offset:1280
	ds_read_b128 v[4:7], v9 offset:2304
	;; [unrolled: 18-line block ×3, first 2 shown]
	s_waitcnt lgkmcnt(0)
	v_add_f64 v[14:15], v[0:1], v[4:5]
	v_add_f64 v[16:17], v[6:7], v[2:3]
	v_add_f64 v[18:19], v[0:1], -v[4:5]
	v_add_f64 v[0:1], v[2:3], -v[6:7]
	s_waitcnt vmcnt(0)
	v_fma_f64 v[2:3], v[18:19], v[12:13], v[14:15]
	v_fma_f64 v[4:5], v[16:17], v[12:13], v[0:1]
	v_fma_f64 v[6:7], -v[18:19], v[12:13], v[14:15]
	v_fma_f64 v[12:13], v[16:17], v[12:13], -v[0:1]
	v_fma_f64 v[0:1], -v[16:17], v[10:11], v[2:3]
	v_fma_f64 v[2:3], v[18:19], v[10:11], v[4:5]
	v_fma_f64 v[4:5], v[16:17], v[10:11], v[6:7]
	;; [unrolled: 1-line block ×3, first 2 shown]
	ds_write_b128 v33, v[0:3] offset:1536
	ds_write_b128 v9, v[4:7] offset:2048
	s_waitcnt lgkmcnt(0)
	s_barrier
	buffer_gl0_inv
	s_barrier
	buffer_gl0_inv
	ds_read_b128 v[4:7], v40 offset:3072
	ds_read_b128 v[8:11], v40 offset:512
	;; [unrolled: 1-line block ×12, first 2 shown]
	s_waitcnt lgkmcnt(10)
	v_add_f64 v[60:61], v[10:11], v[6:7]
	v_add_f64 v[58:59], v[8:9], v[4:5]
	s_waitcnt lgkmcnt(8)
	v_add_f64 v[64:65], v[2:3], v[14:15]
	v_add_f64 v[62:63], v[0:1], v[12:13]
	;; [unrolled: 3-line block ×5, first 2 shown]
	v_add_f64 v[12:13], v[0:1], -v[12:13]
	v_add_f64 v[42:43], v[50:51], -v[42:43]
	;; [unrolled: 1-line block ×3, first 2 shown]
	s_waitcnt lgkmcnt(0)
	v_add_f64 v[78:79], v[46:47], v[54:55]
	v_add_f64 v[80:81], v[48:49], v[56:57]
	v_add_f64 v[10:11], v[10:11], -v[6:7]
	v_add_f64 v[14:15], v[2:3], -v[14:15]
	;; [unrolled: 1-line block ×9, first 2 shown]
	v_add_f64 v[84:85], v[64:65], v[60:61]
	v_add_f64 v[82:83], v[62:63], v[58:59]
	v_add_f64 v[48:49], v[62:63], -v[58:59]
	v_add_f64 v[52:53], v[64:65], -v[60:61]
	v_add_f64 v[86:87], v[70:71], v[66:67]
	v_add_f64 v[88:89], v[72:73], v[68:69]
	v_add_f64 v[18:19], v[58:59], -v[74:75]
	v_add_f64 v[50:51], v[74:75], -v[62:63]
	;; [unrolled: 1-line block ×4, first 2 shown]
	ds_read_b128 v[0:3], v33
	ds_read_b128 v[4:7], v40 offset:256
	s_waitcnt lgkmcnt(0)
	s_barrier
	buffer_gl0_inv
	v_add_f64 v[90:91], v[46:47], v[26:27]
	v_add_f64 v[58:59], v[76:77], v[84:85]
	;; [unrolled: 1-line block ×4, first 2 shown]
	v_add_f64 v[74:75], v[70:71], -v[66:67]
	v_add_f64 v[60:61], v[78:79], v[86:87]
	v_add_f64 v[62:63], v[80:81], v[88:89]
	v_add_f64 v[66:67], v[66:67], -v[78:79]
	v_add_f64 v[70:71], v[78:79], -v[70:71]
	;; [unrolled: 1-line block ×6, first 2 shown]
	v_add_f64 v[82:83], v[44:45], v[14:15]
	v_add_f64 v[12:13], v[12:13], -v[8:9]
	v_add_f64 v[84:85], v[44:45], -v[14:15]
	;; [unrolled: 1-line block ×3, first 2 shown]
	v_add_f64 v[86:87], v[30:31], v[24:25]
	v_add_f64 v[88:89], v[30:31], -v[24:25]
	v_mul_f64 v[92:93], v[18:19], s[18:19]
	v_add_f64 v[23:24], v[24:25], -v[16:17]
	v_add_f64 v[42:43], v[8:9], -v[42:43]
	v_mul_f64 v[54:55], v[54:55], s[18:19]
	v_add_f64 v[21:22], v[2:3], v[58:59]
	v_add_f64 v[2:3], v[46:47], -v[26:27]
	v_add_f64 v[19:20], v[0:1], v[56:57]
	v_mul_f64 v[0:1], v[50:51], s[0:1]
	v_add_f64 v[25:26], v[26:27], -v[28:29]
	v_add_f64 v[8:9], v[76:77], v[8:9]
	v_mul_f64 v[76:77], v[64:65], s[0:1]
	v_add_f64 v[44:45], v[10:11], -v[44:45]
	v_add_f64 v[30:31], v[16:17], -v[30:31]
	v_add_f64 v[4:5], v[4:5], v[60:61]
	v_add_f64 v[6:7], v[6:7], v[62:63]
	v_mul_f64 v[80:81], v[80:81], s[22:23]
	v_add_f64 v[82:83], v[82:83], v[10:11]
	v_mul_f64 v[10:11], v[12:13], s[14:15]
	v_mul_f64 v[84:85], v[84:85], s[22:23]
	v_add_f64 v[46:47], v[28:29], -v[46:47]
	v_add_f64 v[16:17], v[86:87], v[16:17]
	v_mul_f64 v[86:87], v[14:15], s[14:15]
	v_add_f64 v[27:28], v[90:91], v[28:29]
	v_mul_f64 v[66:67], v[66:67], s[18:19]
	v_mul_f64 v[90:91], v[70:71], s[0:1]
	;; [unrolled: 1-line block ×5, first 2 shown]
	v_fma_f64 v[50:51], v[50:51], s[0:1], v[92:93]
	v_fma_f64 v[0:1], v[48:49], s[6:7], -v[0:1]
	v_fma_f64 v[48:49], v[48:49], s[4:5], -v[92:93]
	v_mul_f64 v[92:93], v[23:24], s[14:15]
	v_mul_f64 v[98:99], v[25:26], s[14:15]
	v_fma_f64 v[64:65], v[64:65], s[0:1], v[54:55]
	v_fma_f64 v[76:77], v[52:53], s[6:7], -v[76:77]
	v_fma_f64 v[52:53], v[52:53], s[4:5], -v[54:55]
	v_mul_f64 v[54:55], v[72:73], s[0:1]
	v_fma_f64 v[96:97], v[12:13], s[14:15], -v[80:81]
	v_fma_f64 v[80:81], v[42:43], s[10:11], v[80:81]
	v_fma_f64 v[42:43], v[42:43], s[12:13], -v[10:11]
	v_fma_f64 v[100:101], v[14:15], s[14:15], -v[84:85]
	v_fma_f64 v[84:85], v[44:45], s[10:11], v[84:85]
	v_fma_f64 v[56:57], v[56:57], s[20:21], v[19:20]
	v_fma_f64 v[44:45], v[44:45], s[12:13], -v[86:87]
	v_fma_f64 v[58:59], v[58:59], s[20:21], v[21:22]
	v_fma_f64 v[70:71], v[70:71], s[0:1], v[66:67]
	v_fma_f64 v[86:87], v[74:75], s[6:7], -v[90:91]
	v_fma_f64 v[66:67], v[74:75], s[4:5], -v[66:67]
	;; [unrolled: 1-line block ×3, first 2 shown]
	v_fma_f64 v[74:75], v[30:31], s[10:11], v[88:89]
	v_fma_f64 v[60:61], v[60:61], s[20:21], v[4:5]
	;; [unrolled: 1-line block ×5, first 2 shown]
	v_fma_f64 v[29:30], v[30:31], s[12:13], -v[92:93]
	v_fma_f64 v[46:47], v[46:47], s[12:13], -v[98:99]
	;; [unrolled: 1-line block ×5, first 2 shown]
	v_lshrrev_b16 v14, 8, v102
	v_fma_f64 v[78:79], v[8:9], s[16:17], v[80:81]
	v_fma_f64 v[80:81], v[8:9], s[16:17], v[96:97]
	;; [unrolled: 1-line block ×4, first 2 shown]
	v_add_f64 v[0:1], v[0:1], v[56:57]
	v_fma_f64 v[84:85], v[82:83], s[16:17], v[84:85]
	v_add_f64 v[76:77], v[76:77], v[58:59]
	v_fma_f64 v[82:83], v[82:83], s[16:17], v[44:45]
	v_add_f64 v[48:49], v[48:49], v[56:57]
	v_add_f64 v[52:53], v[52:53], v[58:59]
	;; [unrolled: 1-line block ×4, first 2 shown]
	v_fma_f64 v[90:91], v[16:17], s[16:17], v[74:75]
	v_add_f64 v[96:97], v[70:71], v[60:61]
	v_fma_f64 v[88:89], v[27:28], s[16:17], v[88:89]
	v_add_f64 v[98:99], v[72:73], v[62:63]
	v_fma_f64 v[74:75], v[16:17], s[16:17], v[23:24]
	v_fma_f64 v[15:16], v[16:17], s[16:17], v[29:30]
	;; [unrolled: 1-line block ×3, first 2 shown]
	v_add_f64 v[94:95], v[66:67], v[60:61]
	v_add_f64 v[100:101], v[68:69], v[62:63]
	v_fma_f64 v[17:18], v[27:28], s[16:17], v[25:26]
	v_add_f64 v[64:65], v[86:87], v[60:61]
	v_add_f64 v[86:87], v[54:55], v[62:63]
	v_mul_lo_u16 v2, v14, 7
	v_mov_b32_e32 v3, 4
	v_add_f64 v[23:24], v[0:1], -v[42:43]
	v_add_f64 v[27:28], v[0:1], v[42:43]
	v_add_f64 v[25:26], v[80:81], v[76:77]
	v_add_f64 v[29:30], v[76:77], -v[80:81]
	v_add_f64 v[42:43], v[48:49], v[82:83]
	v_add_f64 v[44:45], v[52:53], -v[8:9]
	v_add_f64 v[46:47], v[48:49], -v[82:83]
	v_add_f64 v[48:49], v[8:9], v[52:53]
	v_add_f64 v[50:51], v[56:57], v[84:85]
	v_add_f64 v[52:53], v[58:59], -v[78:79]
	v_add_f64 v[54:55], v[56:57], -v[84:85]
	v_add_f64 v[56:57], v[78:79], v[58:59]
	v_add_f64 v[70:71], v[96:97], v[88:89]
	v_add_f64 v[72:73], v[98:99], -v[90:91]
	v_sub_nc_u16 v31, v32, v2
	v_add_f64 v[66:67], v[94:95], v[92:93]
	v_add_f64 v[68:69], v[100:101], -v[15:16]
	v_add_f64 v[76:77], v[15:16], v[100:101]
	v_add_f64 v[58:59], v[64:65], -v[17:18]
	v_add_f64 v[60:61], v[74:75], v[86:87]
	v_add_f64 v[62:63], v[64:65], v[17:18]
	v_add_f64 v[64:65], v[86:87], -v[74:75]
	v_add_f64 v[74:75], v[94:95], -v[92:93]
	;; [unrolled: 1-line block ×3, first 2 shown]
	v_add_f64 v[80:81], v[90:91], v[98:99]
	v_or_b32_e32 v11, 32, v32
	v_mul_lo_u16 v12, v41, 37
	v_add3_u32 v0, 0, v103, v37
	v_lshlrev_b32_sdwa v18, v3, v31 dst_sel:DWORD dst_unused:UNUSED_PAD src0_sel:DWORD src1_sel:BYTE_0
	ds_write_b128 v0, v[19:22]
	ds_write_b128 v0, v[4:7] offset:1792
	ds_write_b128 v0, v[50:53] offset:16
	;; [unrolled: 1-line block ×13, first 2 shown]
	v_mul_lo_u16 v15, v11, 37
	v_lshrrev_b16 v13, 8, v12
	s_waitcnt lgkmcnt(0)
	s_barrier
	buffer_gl0_inv
	global_load_dwordx4 v[26:29], v18, s[8:9]
	v_lshrrev_b16 v20, 8, v15
	v_mul_lo_u16 v10, v13, 7
	v_or_b32_e32 v2, 48, v32
	v_or_b32_e32 v4, 64, v32
	;; [unrolled: 1-line block ×3, first 2 shown]
	v_mul_lo_u16 v0, v20, 7
	v_sub_nc_u16 v10, v41, v10
	v_mul_lo_u16 v9, v2, 37
	v_or_b32_e32 v7, 0x60, v32
	v_mul_lo_u16 v6, 0x93, v5
	v_sub_nc_u16 v0, v11, v0
	v_lshlrev_b32_sdwa v17, v3, v10 dst_sel:DWORD dst_unused:UNUSED_PAD src0_sel:DWORD src1_sel:BYTE_0
	v_mul_lo_u16 v10, 0x93, v4
	v_lshrrev_b16 v16, 8, v9
	v_mul_lo_u16 v8, 0x93, v7
	v_lshlrev_b32_sdwa v21, v3, v0 dst_sel:DWORD dst_unused:UNUSED_PAD src0_sel:DWORD src1_sel:BYTE_0
	global_load_dwordx4 v[42:45], v17, s[8:9]
	v_lshrrev_b16 v24, 10, v10
	v_mul_lo_u16 v1, v16, 7
	v_lshrrev_b16 v25, 10, v6
	global_load_dwordx4 v[46:49], v21, s[8:9]
	v_lshrrev_b16 v98, 10, v8
	v_mul_lo_u16 v0, v24, 7
	v_sub_nc_u16 v1, v2, v1
	v_and_b32_e32 v13, 0xffff, v13
	v_and_b32_e32 v14, 0xffff, v14
	v_cmp_gt_u32_e64 s0, 14, v32
	v_sub_nc_u16 v0, v4, v0
	v_lshlrev_b32_sdwa v19, v3, v1 dst_sel:DWORD dst_unused:UNUSED_PAD src0_sel:DWORD src1_sel:BYTE_0
	v_mul_lo_u16 v1, v25, 7
	v_mad_u32_u24 v13, 0xe0, v13, 0
	v_mad_u32_u24 v14, 0xe0, v14, 0
	v_lshlrev_b32_sdwa v22, v3, v0 dst_sel:DWORD dst_unused:UNUSED_PAD src0_sel:DWORD src1_sel:BYTE_0
	global_load_dwordx4 v[50:53], v19, s[8:9]
	v_mul_lo_u16 v0, v98, 7
	v_sub_nc_u16 v1, v5, v1
	v_add3_u32 v17, v13, v17, v37
	global_load_dwordx4 v[54:57], v22, s[8:9]
	v_and_b32_e32 v13, 0xffff, v20
	v_sub_nc_u16 v0, v7, v0
	v_lshlrev_b32_sdwa v23, v3, v1 dst_sel:DWORD dst_unused:UNUSED_PAD src0_sel:DWORD src1_sel:BYTE_0
	v_lshrrev_b16 v12, 9, v12
	v_add3_u32 v18, v14, v18, v37
	v_mad_u32_u24 v13, 0xe0, v13, 0
	v_lshlrev_b32_sdwa v99, v3, v0 dst_sel:DWORD dst_unused:UNUSED_PAD src0_sel:DWORD src1_sel:BYTE_0
	global_load_dwordx4 v[58:61], v23, s[8:9]
	v_lshrrev_b16 v14, 9, v15
	v_and_b32_e32 v16, 0xffff, v16
	v_add3_u32 v15, v13, v21, v37
	global_load_dwordx4 v[62:65], v99, s[8:9]
	ds_read_b128 v[66:69], v40 offset:1792
	ds_read_b128 v[70:73], v40 offset:2048
	;; [unrolled: 1-line block ×3, first 2 shown]
	v_mul_lo_u16 v13, v12, 14
	v_and_b32_e32 v20, 0xffff, v24
	v_and_b32_e32 v21, 0xffff, v25
	;; [unrolled: 1-line block ×3, first 2 shown]
	v_mad_u32_u24 v16, 0xe0, v16, 0
	v_sub_nc_u16 v13, v41, v13
	v_mad_u32_u24 v20, 0xe0, v20, 0
	v_mad_u32_u24 v21, 0xe0, v21, 0
	;; [unrolled: 1-line block ×3, first 2 shown]
	v_add3_u32 v16, v16, v19, v37
	v_lshlrev_b32_sdwa v13, v3, v13 dst_sel:DWORD dst_unused:UNUSED_PAD src0_sel:DWORD src1_sel:BYTE_0
	v_add3_u32 v19, v20, v22, v37
	v_add3_u32 v20, v21, v23, v37
	;; [unrolled: 1-line block ×3, first 2 shown]
	v_lshrrev_b16 v22, 11, v8
	v_lshrrev_b16 v99, 10, v9
	;; [unrolled: 1-line block ×3, first 2 shown]
	ds_read_b128 v[78:81], v40 offset:2560
	v_mul_lo_u16 v8, v8, 28
	v_sub_nc_u16 v8, v7, v8
	v_lshlrev_b32_sdwa v102, v3, v8 dst_sel:DWORD dst_unused:UNUSED_PAD src0_sel:DWORD src1_sel:BYTE_0
	s_waitcnt vmcnt(6) lgkmcnt(3)
	v_mul_f64 v[0:1], v[68:69], v[28:29]
	v_mul_f64 v[82:83], v[66:67], v[28:29]
	ds_read_b128 v[28:31], v40 offset:2304
	s_waitcnt vmcnt(5) lgkmcnt(3)
	v_mul_f64 v[84:85], v[72:73], v[44:45]
	v_mul_f64 v[44:45], v[70:71], v[44:45]
	v_fma_f64 v[0:1], v[66:67], v[26:27], -v[0:1]
	v_fma_f64 v[82:83], v[68:69], v[26:27], v[82:83]
	ds_read_b128 v[66:69], v40 offset:2816
	s_waitcnt vmcnt(4) lgkmcnt(1)
	v_mul_f64 v[26:27], v[30:31], v[48:49]
	v_mul_f64 v[48:49], v[28:29], v[48:49]
	s_waitcnt vmcnt(3)
	v_mul_f64 v[86:87], v[80:81], v[52:53]
	v_mul_f64 v[52:53], v[78:79], v[52:53]
	v_fma_f64 v[70:71], v[70:71], v[42:43], -v[84:85]
	v_fma_f64 v[72:73], v[72:73], v[42:43], v[44:45]
	ds_read_b128 v[42:45], v40 offset:3072
	s_waitcnt vmcnt(2) lgkmcnt(1)
	v_mul_f64 v[84:85], v[68:69], v[56:57]
	v_mul_f64 v[56:57], v[66:67], v[56:57]
	v_fma_f64 v[88:89], v[28:29], v[46:47], -v[26:27]
	ds_read_b128 v[26:29], v40 offset:3328
	v_fma_f64 v[30:31], v[30:31], v[46:47], v[48:49]
	ds_read_b128 v[46:49], v33
	v_fma_f64 v[78:79], v[78:79], v[50:51], -v[86:87]
	v_fma_f64 v[80:81], v[80:81], v[50:51], v[52:53]
	ds_read_b128 v[50:53], v40 offset:256
	s_waitcnt vmcnt(1) lgkmcnt(3)
	v_mul_f64 v[90:91], v[44:45], v[60:61]
	v_mul_f64 v[60:61], v[42:43], v[60:61]
	v_fma_f64 v[86:87], v[66:67], v[54:55], -v[84:85]
	v_fma_f64 v[92:93], v[68:69], v[54:55], v[56:57]
	s_waitcnt vmcnt(0) lgkmcnt(2)
	v_mul_f64 v[84:85], v[28:29], v[64:65]
	v_mul_f64 v[96:97], v[26:27], v[64:65]
	ds_read_b128 v[54:57], v40 offset:512
	s_waitcnt lgkmcnt(1)
	v_add_f64 v[64:65], v[50:51], -v[70:71]
	v_add_f64 v[66:67], v[52:53], -v[72:73]
	v_fma_f64 v[90:91], v[42:43], v[58:59], -v[90:91]
	v_fma_f64 v[94:95], v[44:45], v[58:59], v[60:61]
	ds_read_b128 v[42:45], v40 offset:768
	v_add_f64 v[58:59], v[46:47], -v[0:1]
	v_add_f64 v[60:61], v[48:49], -v[82:83]
	s_waitcnt lgkmcnt(1)
	v_add_f64 v[70:71], v[56:57], -v[30:31]
	v_fma_f64 v[0:1], v[26:27], v[62:63], -v[84:85]
	v_fma_f64 v[30:31], v[28:29], v[62:63], v[96:97]
	ds_read_b128 v[26:29], v40 offset:1024
	ds_read_b128 v[82:85], v40 offset:1280
	v_add_f64 v[68:69], v[54:55], -v[88:89]
	s_waitcnt lgkmcnt(0)
	s_barrier
	buffer_gl0_inv
	v_fma_f64 v[50:51], v[50:51], 2.0, -v[64:65]
	v_fma_f64 v[52:53], v[52:53], 2.0, -v[66:67]
	v_add_f64 v[78:79], v[42:43], -v[78:79]
	v_add_f64 v[80:81], v[44:45], -v[80:81]
	v_fma_f64 v[46:47], v[46:47], 2.0, -v[58:59]
	v_fma_f64 v[48:49], v[48:49], 2.0, -v[60:61]
	;; [unrolled: 1-line block ×3, first 2 shown]
	v_add_f64 v[86:87], v[26:27], -v[86:87]
	v_add_f64 v[88:89], v[28:29], -v[92:93]
	;; [unrolled: 1-line block ×6, first 2 shown]
	v_add_nc_u32_e32 v0, -14, v32
	v_fma_f64 v[54:55], v[54:55], 2.0, -v[68:69]
	v_mov_b32_e32 v1, 0
	v_cndmask_b32_e64 v0, v0, v32, s0
	v_fma_f64 v[42:43], v[42:43], 2.0, -v[78:79]
	v_fma_f64 v[44:45], v[44:45], 2.0, -v[80:81]
	v_lshlrev_b64 v[30:31], 4, v[0:1]
	v_lshlrev_b32_e32 v98, 4, v0
	v_fma_f64 v[26:27], v[26:27], 2.0, -v[86:87]
	v_fma_f64 v[28:29], v[28:29], 2.0, -v[88:89]
	;; [unrolled: 1-line block ×6, first 2 shown]
	v_add_co_u32 v30, s0, s8, v30
	v_add_co_ci_u32_e64 v31, s0, s9, v31, s0
	ds_write_b128 v18, v[58:61] offset:112
	ds_write_b128 v18, v[46:49]
	ds_write_b128 v17, v[50:53]
	ds_write_b128 v17, v[64:67] offset:112
	ds_write_b128 v15, v[54:57]
	ds_write_b128 v15, v[68:71] offset:112
	;; [unrolled: 2-line block ×6, first 2 shown]
	s_waitcnt lgkmcnt(0)
	s_barrier
	buffer_gl0_inv
	s_clause 0x1
	global_load_dwordx4 v[23:26], v[30:31], off offset:112
	global_load_dwordx4 v[27:30], v13, s[8:9] offset:112
	v_mul_lo_u16 v15, v14, 14
	v_lshrrev_b16 v16, 9, v9
	v_lshrrev_b16 v18, 11, v6
	v_mul_lo_u16 v21, v22, 14
	v_cmp_lt_u32_e64 s0, 13, v32
	v_sub_nc_u16 v11, v11, v15
	v_mul_lo_u16 v17, v16, 14
	v_mul_lo_u16 v20, v18, 14
	v_sub_nc_u16 v21, v7, v21
	v_cndmask_b32_e64 v31, 0, 0x1c0, s0
	v_lshlrev_b32_sdwa v11, v3, v11 dst_sel:DWORD dst_unused:UNUSED_PAD src0_sel:DWORD src1_sel:BYTE_0
	v_sub_nc_u16 v15, v2, v17
	v_lshrrev_b16 v17, 11, v10
	v_sub_nc_u16 v20, v5, v20
	v_lshlrev_b32_sdwa v21, v3, v21 dst_sel:DWORD dst_unused:UNUSED_PAD src0_sel:DWORD src1_sel:BYTE_0
	global_load_dwordx4 v[42:45], v11, s[8:9] offset:112
	v_lshlrev_b32_sdwa v15, v3, v15 dst_sel:DWORD dst_unused:UNUSED_PAD src0_sel:DWORD src1_sel:BYTE_0
	v_mul_lo_u16 v19, v17, 14
	v_lshlrev_b32_sdwa v20, v3, v20 dst_sel:DWORD dst_unused:UNUSED_PAD src0_sel:DWORD src1_sel:BYTE_0
	v_cmp_gt_u32_e64 s0, 28, v41
	v_add_nc_u32_e32 v31, 0, v31
	global_load_dwordx4 v[46:49], v15, s[8:9] offset:112
	v_sub_nc_u16 v19, v4, v19
	v_and_b32_e32 v18, 0xffff, v18
	v_add3_u32 v9, v31, v98, v37
	v_and_b32_e32 v31, 0xffff, v17
	v_lshlrev_b32_sdwa v19, v3, v19 dst_sel:DWORD dst_unused:UNUSED_PAD src0_sel:DWORD src1_sel:BYTE_0
	v_mad_u32_u24 v18, 0x1c0, v18, 0
	s_clause 0x2
	global_load_dwordx4 v[50:53], v19, s[8:9] offset:112
	global_load_dwordx4 v[54:57], v20, s[8:9] offset:112
	;; [unrolled: 1-line block ×3, first 2 shown]
	ds_read_b128 v[62:65], v40 offset:1792
	ds_read_b128 v[66:69], v40 offset:2048
	ds_read_b128 v[70:73], v40 offset:2304
	ds_read_b128 v[74:77], v40 offset:1536
	ds_read_b128 v[78:81], v40 offset:2560
	s_waitcnt vmcnt(6) lgkmcnt(4)
	v_mul_f64 v[82:83], v[64:65], v[25:26]
	v_mul_f64 v[25:26], v[62:63], v[25:26]
	s_waitcnt vmcnt(5) lgkmcnt(3)
	v_mul_f64 v[84:85], v[68:69], v[29:30]
	v_mul_f64 v[29:30], v[66:67], v[29:30]
	;; [unrolled: 3-line block ×3, first 2 shown]
	v_fma_f64 v[82:83], v[62:63], v[23:24], -v[82:83]
	v_fma_f64 v[88:89], v[64:65], v[23:24], v[25:26]
	ds_read_b128 v[23:26], v40 offset:2816
	v_fma_f64 v[66:67], v[66:67], v[27:28], -v[84:85]
	v_fma_f64 v[68:69], v[68:69], v[27:28], v[29:30]
	ds_read_b128 v[27:30], v40 offset:3072
	ds_read_b128 v[62:65], v40 offset:3328
	s_waitcnt vmcnt(3) lgkmcnt(3)
	v_mul_f64 v[90:91], v[80:81], v[48:49]
	v_mul_f64 v[48:49], v[78:79], v[48:49]
	v_fma_f64 v[70:71], v[70:71], v[42:43], -v[86:87]
	v_fma_f64 v[72:73], v[72:73], v[42:43], v[44:45]
	s_waitcnt vmcnt(2) lgkmcnt(2)
	v_mul_f64 v[42:43], v[25:26], v[52:53]
	v_mul_f64 v[52:53], v[23:24], v[52:53]
	s_waitcnt vmcnt(1) lgkmcnt(1)
	v_mul_f64 v[84:85], v[29:30], v[56:57]
	v_mul_f64 v[56:57], v[27:28], v[56:57]
	;; [unrolled: 3-line block ×3, first 2 shown]
	v_fma_f64 v[78:79], v[78:79], v[46:47], -v[90:91]
	v_fma_f64 v[80:81], v[80:81], v[46:47], v[48:49]
	ds_read_b128 v[46:49], v40 offset:512
	v_fma_f64 v[90:91], v[23:24], v[50:51], -v[42:43]
	ds_read_b128 v[42:45], v33
	v_fma_f64 v[92:93], v[25:26], v[50:51], v[52:53]
	ds_read_b128 v[23:26], v40 offset:256
	v_fma_f64 v[84:85], v[27:28], v[54:55], -v[84:85]
	v_fma_f64 v[94:95], v[29:30], v[54:55], v[56:57]
	ds_read_b128 v[27:30], v40 offset:768
	ds_read_b128 v[50:53], v40 offset:1024
	;; [unrolled: 1-line block ×3, first 2 shown]
	v_fma_f64 v[86:87], v[62:63], v[58:59], -v[86:87]
	v_fma_f64 v[96:97], v[64:65], v[58:59], v[60:61]
	v_add_nc_u32_e32 v58, -12, v32
	s_waitcnt lgkmcnt(0)
	s_barrier
	buffer_gl0_inv
	v_cndmask_b32_e64 v0, v58, v41, s0
	v_add_f64 v[58:59], v[42:43], -v[82:83]
	v_add_f64 v[60:61], v[44:45], -v[88:89]
	;; [unrolled: 1-line block ×14, first 2 shown]
	v_and_b32_e32 v91, 0xffff, v22
	v_lshrrev_b16 v90, 12, v10
	v_and_b32_e32 v10, 0xffff, v12
	v_and_b32_e32 v12, 0xffff, v14
	;; [unrolled: 1-line block ×3, first 2 shown]
	v_lshlrev_b64 v[16:17], 4, v[0:1]
	v_mad_u32_u24 v10, 0x1c0, v10, 0
	v_fma_f64 v[42:43], v[42:43], 2.0, -v[58:59]
	v_fma_f64 v[44:45], v[44:45], 2.0, -v[60:61]
	;; [unrolled: 1-line block ×14, first 2 shown]
	v_mad_u32_u24 v12, 0x1c0, v12, 0
	v_mad_u32_u24 v30, 0x1c0, v31, 0
	;; [unrolled: 1-line block ×4, first 2 shown]
	v_add3_u32 v10, v10, v13, v37
	v_add3_u32 v11, v12, v11, v37
	v_add3_u32 v13, v30, v19, v37
	v_add3_u32 v12, v14, v15, v37
	v_add3_u32 v14, v18, v20, v37
	v_add3_u32 v15, v31, v21, v37
	ds_write_b128 v9, v[58:61] offset:224
	ds_write_b128 v9, v[42:45]
	ds_write_b128 v10, v[22:25]
	ds_write_b128 v10, v[62:65] offset:224
	ds_write_b128 v11, v[46:49]
	ds_write_b128 v11, v[66:69] offset:224
	ds_write_b128 v12, v[26:29]
	ds_write_b128 v12, v[70:73] offset:224
	ds_write_b128 v13, v[50:53]
	ds_write_b128 v13, v[78:81] offset:224
	ds_write_b128 v14, v[54:57]
	ds_write_b128 v14, v[82:85] offset:224
	ds_write_b128 v15, v[74:77]
	ds_write_b128 v15, v[86:89] offset:224
	v_add_co_u32 v13, s0, s8, v16
	v_add_co_ci_u32_e64 v14, s0, s9, v17, s0
	s_waitcnt lgkmcnt(0)
	s_barrier
	buffer_gl0_inv
	s_clause 0x1
	global_load_dwordx4 v[9:12], v39, s[8:9] offset:336
	global_load_dwordx4 v[13:16], v[13:14], off offset:336
	v_lshrrev_b16 v31, 12, v6
	v_mul_lo_u16 v6, v99, 28
	v_mul_lo_u16 v17, v90, 28
	v_cmp_lt_u32_e64 s0, 27, v41
	v_mul_lo_u16 v18, v31, 28
	v_sub_nc_u16 v6, v2, v6
	v_sub_nc_u16 v4, v4, v17
	;; [unrolled: 1-line block ×3, first 2 shown]
	global_load_dwordx4 v[17:20], v38, s[8:9] offset:400
	v_lshlrev_b32_sdwa v98, v3, v6 dst_sel:DWORD dst_unused:UNUSED_PAD src0_sel:DWORD src1_sel:BYTE_0
	v_lshlrev_b32_sdwa v100, v3, v4 dst_sel:DWORD dst_unused:UNUSED_PAD src0_sel:DWORD src1_sel:BYTE_0
	;; [unrolled: 1-line block ×3, first 2 shown]
	s_clause 0x3
	global_load_dwordx4 v[4:7], v98, s[8:9] offset:336
	global_load_dwordx4 v[21:24], v100, s[8:9] offset:336
	;; [unrolled: 1-line block ×4, first 2 shown]
	ds_read_b128 v[46:49], v40 offset:1792
	ds_read_b128 v[50:53], v40 offset:2048
	;; [unrolled: 1-line block ×7, first 2 shown]
	s_waitcnt vmcnt(6) lgkmcnt(6)
	v_mul_f64 v[29:30], v[48:49], v[11:12]
	v_mul_f64 v[11:12], v[46:47], v[11:12]
	s_waitcnt vmcnt(5) lgkmcnt(5)
	v_mul_f64 v[74:75], v[52:53], v[15:16]
	v_mul_f64 v[15:16], v[50:51], v[15:16]
	s_waitcnt vmcnt(4) lgkmcnt(4)
	v_mul_f64 v[76:77], v[56:57], v[19:20]
	v_mul_f64 v[19:20], v[54:55], v[19:20]
	s_waitcnt vmcnt(3) lgkmcnt(3)
	v_mul_f64 v[78:79], v[60:61], v[6:7]
	v_mul_f64 v[80:81], v[58:59], v[6:7]
	s_waitcnt vmcnt(2) lgkmcnt(2)
	v_mul_f64 v[82:83], v[64:65], v[23:24]
	v_mul_f64 v[23:24], v[62:63], v[23:24]
	v_fma_f64 v[86:87], v[48:49], v[9:10], v[11:12]
	s_waitcnt vmcnt(1) lgkmcnt(1)
	v_mul_f64 v[48:49], v[68:69], v[27:28]
	v_mul_f64 v[88:89], v[66:67], v[27:28]
	s_waitcnt vmcnt(0) lgkmcnt(0)
	v_mul_f64 v[90:91], v[72:73], v[44:45]
	v_fma_f64 v[74:75], v[50:51], v[13:14], -v[74:75]
	v_mul_f64 v[50:51], v[70:71], v[44:45]
	v_fma_f64 v[84:85], v[46:47], v[9:10], -v[29:30]
	v_fma_f64 v[92:93], v[52:53], v[13:14], v[15:16]
	ds_read_b128 v[6:9], v33
	v_fma_f64 v[76:77], v[54:55], v[17:18], -v[76:77]
	v_fma_f64 v[94:95], v[56:57], v[17:18], v[19:20]
	ds_read_b128 v[10:13], v40 offset:256
	ds_read_b128 v[14:17], v40 offset:512
	;; [unrolled: 1-line block ×4, first 2 shown]
	v_fma_f64 v[78:79], v[58:59], v[4:5], -v[78:79]
	v_fma_f64 v[3:4], v[60:61], v[4:5], v[80:81]
	v_fma_f64 v[80:81], v[62:63], v[21:22], -v[82:83]
	v_fma_f64 v[82:83], v[64:65], v[21:22], v[23:24]
	ds_read_b128 v[18:21], v40 offset:1280
	v_fma_f64 v[96:97], v[66:67], v[25:26], -v[48:49]
	v_fma_f64 v[88:89], v[68:69], v[25:26], v[88:89]
	ds_read_b128 v[22:25], v40 offset:1536
	v_fma_f64 v[90:91], v[70:71], v[42:43], -v[90:91]
	v_fma_f64 v[42:43], v[72:73], v[42:43], v[50:51]
	s_waitcnt lgkmcnt(6)
	v_add_f64 v[48:49], v[6:7], -v[84:85]
	v_add_f64 v[50:51], v[8:9], -v[86:87]
	v_cndmask_b32_e64 v5, 0, 0x380, s0
	v_cmp_gt_u32_e64 s0, 56, v2
	s_waitcnt lgkmcnt(0)
	v_add_f64 v[52:53], v[10:11], -v[74:75]
	v_add_f64 v[54:55], v[12:13], -v[92:93]
	;; [unrolled: 1-line block ×4, first 2 shown]
	v_add_nc_u32_e32 v76, 0, v5
	v_lshlrev_b32_e32 v77, 4, v0
	s_barrier
	v_add_f64 v[60:61], v[27:28], -v[78:79]
	v_add_f64 v[62:63], v[29:30], -v[3:4]
	;; [unrolled: 1-line block ×4, first 2 shown]
	v_and_b32_e32 v3, 0xffff, v99
	v_add_f64 v[68:69], v[18:19], -v[96:97]
	v_add_f64 v[70:71], v[20:21], -v[88:89]
	v_and_b32_e32 v4, 0xffff, v31
	v_add_f64 v[72:73], v[22:23], -v[90:91]
	v_add_f64 v[74:75], v[24:25], -v[42:43]
	v_mad_u32_u24 v78, 0x380, v3, 0
	v_add_nc_u32_e32 v31, -8, v32
	v_mad_u32_u24 v79, 0x380, v4, 0
	v_fma_f64 v[3:4], v[6:7], 2.0, -v[48:49]
	v_fma_f64 v[5:6], v[8:9], 2.0, -v[50:51]
	;; [unrolled: 1-line block ×6, first 2 shown]
	v_cndmask_b32_e64 v0, v31, v2, s0
	v_add3_u32 v31, 0, v102, v37
	buffer_gl0_inv
	v_fma_f64 v[26:27], v[27:28], 2.0, -v[60:61]
	v_fma_f64 v[28:29], v[29:30], 2.0, -v[62:63]
	;; [unrolled: 1-line block ×4, first 2 shown]
	v_add3_u32 v30, v79, v101, v37
	v_fma_f64 v[15:16], v[18:19], 2.0, -v[68:69]
	v_fma_f64 v[17:18], v[20:21], 2.0, -v[70:71]
	;; [unrolled: 1-line block ×4, first 2 shown]
	v_add3_u32 v23, v76, v77, v37
	v_add3_u32 v24, v78, v98, v37
	;; [unrolled: 1-line block ×3, first 2 shown]
	ds_write_b128 v40, v[48:51] offset:448
	ds_write_b128 v40, v[3:6]
	ds_write_b128 v23, v[7:10]
	ds_write_b128 v23, v[52:55] offset:448
	ds_write_b128 v40, v[11:14] offset:960
	ds_write_b128 v40, v[56:59] offset:1408
	ds_write_b128 v24, v[26:29]
	ds_write_b128 v24, v[60:63] offset:448
	ds_write_b128 v25, v[41:44] offset:1792
	ds_write_b128 v25, v[64:67] offset:2240
	;; [unrolled: 4-line block ×3, first 2 shown]
	v_lshlrev_b64 v[11:12], 4, v[0:1]
	s_waitcnt lgkmcnt(0)
	s_barrier
	buffer_gl0_inv
	s_clause 0x1
	global_load_dwordx4 v[3:6], v39, s[8:9] offset:784
	global_load_dwordx4 v[7:10], v38, s[8:9] offset:1040
	v_add_co_u32 v15, s0, s8, v11
	v_add_co_ci_u32_e64 v16, s0, s9, v12, s0
	s_clause 0x4
	global_load_dwordx4 v[11:14], v38, s[8:9] offset:1296
	global_load_dwordx4 v[15:18], v[15:16], off offset:784
	global_load_dwordx4 v[19:22], v38, s[8:9] offset:912
	global_load_dwordx4 v[23:26], v38, s[8:9] offset:1168
	;; [unrolled: 1-line block ×3, first 2 shown]
	ds_read_b128 v[41:44], v40 offset:1792
	ds_read_b128 v[45:48], v40 offset:2048
	;; [unrolled: 1-line block ×7, first 2 shown]
	v_cmp_lt_u32_e64 s0, 55, v2
	v_lshlrev_b32_e32 v0, 4, v0
	v_cndmask_b32_e64 v2, 0, 0x700, s0
	v_add_nc_u32_e32 v31, 0, v2
	v_add3_u32 v0, v31, v0, v37
	s_waitcnt vmcnt(6) lgkmcnt(6)
	v_mul_f64 v[69:70], v[43:44], v[5:6]
	v_mul_f64 v[5:6], v[41:42], v[5:6]
	s_waitcnt vmcnt(5) lgkmcnt(5)
	v_mul_f64 v[71:72], v[47:48], v[9:10]
	v_mul_f64 v[9:10], v[45:46], v[9:10]
	;; [unrolled: 3-line block ×7, first 2 shown]
	v_fma_f64 v[69:70], v[41:42], v[3:4], -v[69:70]
	v_fma_f64 v[83:84], v[43:44], v[3:4], v[5:6]
	v_fma_f64 v[71:72], v[45:46], v[7:8], -v[71:72]
	v_fma_f64 v[85:86], v[47:48], v[7:8], v[9:10]
	ds_read_b128 v[3:6], v33
	v_fma_f64 v[49:50], v[49:50], v[11:12], -v[73:74]
	v_fma_f64 v[51:52], v[51:52], v[11:12], v[13:14]
	v_fma_f64 v[53:54], v[53:54], v[15:16], -v[75:76]
	v_fma_f64 v[55:56], v[55:56], v[15:16], v[17:18]
	ds_read_b128 v[7:10], v40 offset:256
	ds_read_b128 v[41:44], v40 offset:512
	v_fma_f64 v[57:58], v[57:58], v[19:20], -v[77:78]
	v_fma_f64 v[59:60], v[59:60], v[19:20], v[21:22]
	ds_read_b128 v[11:14], v40 offset:768
	ds_read_b128 v[45:48], v40 offset:1024
	v_fma_f64 v[61:62], v[61:62], v[23:24], -v[79:80]
	v_fma_f64 v[63:64], v[63:64], v[23:24], v[25:26]
	v_fma_f64 v[65:66], v[65:66], v[27:28], -v[81:82]
	ds_read_b128 v[15:18], v40 offset:1280
	ds_read_b128 v[19:22], v40 offset:1536
	v_fma_f64 v[67:68], v[67:68], v[27:28], v[29:30]
	s_waitcnt lgkmcnt(0)
	s_barrier
	buffer_gl0_inv
	v_add_f64 v[23:24], v[3:4], -v[69:70]
	v_add_f64 v[25:26], v[5:6], -v[83:84]
	;; [unrolled: 1-line block ×14, first 2 shown]
	v_fma_f64 v[2:3], v[3:4], 2.0, -v[23:24]
	v_fma_f64 v[4:5], v[5:6], 2.0, -v[25:26]
	;; [unrolled: 1-line block ×14, first 2 shown]
	v_add_co_u32 v22, s0, s8, v38
	v_add_co_ci_u32_e64 v69, null, s9, 0, s0
	ds_write_b128 v40, v[23:26] offset:896
	ds_write_b128 v40, v[27:30] offset:1152
	;; [unrolled: 1-line block ×3, first 2 shown]
	ds_write_b128 v40, v[2:5]
	ds_write_b128 v40, v[6:9] offset:256
	ds_write_b128 v40, v[41:44] offset:512
	ds_write_b128 v0, v[10:13]
	ds_write_b128 v0, v[53:56] offset:896
	ds_write_b128 v40, v[45:48] offset:1920
	;; [unrolled: 1-line block ×7, first 2 shown]
	s_waitcnt lgkmcnt(0)
	s_barrier
	buffer_gl0_inv
	global_load_dwordx4 v[2:5], v39, s[8:9] offset:1680
	v_add_co_u32 v26, s0, 0x800, v22
	v_add_co_ci_u32_e64 v27, s0, 0, v69, s0
	s_clause 0x5
	global_load_dwordx4 v[6:9], v38, s[8:9] offset:1936
	global_load_dwordx4 v[10:13], v[26:27], off offset:144
	global_load_dwordx4 v[14:17], v[26:27], off offset:400
	;; [unrolled: 1-line block ×5, first 2 shown]
	ds_read_b128 v[41:44], v40 offset:1792
	ds_read_b128 v[45:48], v40 offset:2048
	;; [unrolled: 1-line block ×7, first 2 shown]
	s_waitcnt vmcnt(6) lgkmcnt(6)
	v_mul_f64 v[30:31], v[43:44], v[4:5]
	v_mul_f64 v[4:5], v[41:42], v[4:5]
	s_waitcnt vmcnt(5) lgkmcnt(5)
	v_mul_f64 v[37:38], v[47:48], v[8:9]
	v_mul_f64 v[8:9], v[45:46], v[8:9]
	;; [unrolled: 3-line block ×7, first 2 shown]
	v_fma_f64 v[81:82], v[41:42], v[2:3], -v[30:31]
	v_fma_f64 v[83:84], v[43:44], v[2:3], v[4:5]
	v_fma_f64 v[37:38], v[45:46], v[6:7], -v[37:38]
	v_fma_f64 v[47:48], v[47:48], v[6:7], v[8:9]
	ds_read_b128 v[2:5], v33
	v_fma_f64 v[49:50], v[49:50], v[10:11], -v[69:70]
	v_fma_f64 v[51:52], v[51:52], v[10:11], v[12:13]
	v_fma_f64 v[53:54], v[53:54], v[14:15], -v[71:72]
	v_fma_f64 v[55:56], v[55:56], v[14:15], v[16:17]
	ds_read_b128 v[6:9], v40 offset:256
	ds_read_b128 v[28:31], v40 offset:512
	v_fma_f64 v[57:58], v[57:58], v[18:19], -v[73:74]
	v_fma_f64 v[59:60], v[59:60], v[18:19], v[20:21]
	v_fma_f64 v[61:62], v[61:62], v[22:23], -v[75:76]
	v_fma_f64 v[63:64], v[63:64], v[22:23], v[24:25]
	ds_read_b128 v[10:13], v40 offset:768
	ds_read_b128 v[41:44], v40 offset:1024
	v_fma_f64 v[65:66], v[65:66], v[26:27], -v[77:78]
	v_fma_f64 v[26:27], v[67:68], v[26:27], v[79:80]
	ds_read_b128 v[14:17], v40 offset:1280
	ds_read_b128 v[18:21], v40 offset:1536
	s_waitcnt lgkmcnt(0)
	s_barrier
	buffer_gl0_inv
	v_add_f64 v[22:23], v[2:3], -v[81:82]
	v_add_f64 v[24:25], v[4:5], -v[83:84]
	;; [unrolled: 1-line block ×14, first 2 shown]
	v_fma_f64 v[2:3], v[2:3], 2.0, -v[22:23]
	v_fma_f64 v[4:5], v[4:5], 2.0, -v[24:25]
	;; [unrolled: 1-line block ×14, first 2 shown]
	ds_write_b128 v40, v[22:25] offset:1792
	ds_write_b128 v40, v[45:48] offset:2048
	;; [unrolled: 1-line block ×7, first 2 shown]
	ds_write_b128 v40, v[2:5]
	ds_write_b128 v40, v[6:9] offset:256
	ds_write_b128 v40, v[26:29] offset:512
	ds_write_b128 v40, v[10:13] offset:768
	ds_write_b128 v40, v[41:44] offset:1024
	ds_write_b128 v40, v[14:17] offset:1280
	ds_write_b128 v40, v[18:21] offset:1536
	s_waitcnt lgkmcnt(0)
	s_barrier
	buffer_gl0_inv
	s_and_saveexec_b32 s0, vcc_lo
	s_cbranch_execz .LBB0_19
; %bb.18:
	v_lshl_add_u32 v28, v32, 4, v36
	v_mov_b32_e32 v33, v1
	v_add_nc_u32_e32 v0, 16, v32
	v_add_co_u32 v30, vcc_lo, s2, v34
	ds_read_b128 v[2:5], v28
	ds_read_b128 v[6:9], v28 offset:256
	ds_read_b128 v[10:13], v28 offset:512
	v_lshlrev_b64 v[14:15], 4, v[32:33]
	v_lshlrev_b64 v[16:17], 4, v[0:1]
	v_add_nc_u32_e32 v0, 32, v32
	v_add_co_ci_u32_e32 v31, vcc_lo, s3, v35, vcc_lo
	v_add_co_u32 v14, vcc_lo, v30, v14
	v_lshlrev_b64 v[18:19], 4, v[0:1]
	v_add_co_ci_u32_e32 v15, vcc_lo, v31, v15, vcc_lo
	v_add_co_u32 v16, vcc_lo, v30, v16
	v_add_co_ci_u32_e32 v17, vcc_lo, v31, v17, vcc_lo
	v_add_co_u32 v18, vcc_lo, v30, v18
	v_add_nc_u32_e32 v0, 48, v32
	v_add_co_ci_u32_e32 v19, vcc_lo, v31, v19, vcc_lo
	s_waitcnt lgkmcnt(2)
	global_store_dwordx4 v[14:15], v[2:5], off
	s_waitcnt lgkmcnt(1)
	global_store_dwordx4 v[16:17], v[6:9], off
	ds_read_b128 v[2:5], v28 offset:768
	v_lshlrev_b64 v[20:21], 4, v[0:1]
	v_add_nc_u32_e32 v0, 64, v32
	s_waitcnt lgkmcnt(1)
	global_store_dwordx4 v[18:19], v[10:13], off
	ds_read_b128 v[6:9], v28 offset:1024
	ds_read_b128 v[10:13], v28 offset:1280
	v_lshlrev_b64 v[14:15], 4, v[0:1]
	v_add_nc_u32_e32 v0, 0x50, v32
	v_add_co_u32 v16, vcc_lo, v30, v20
	v_add_co_ci_u32_e32 v17, vcc_lo, v31, v21, vcc_lo
	v_lshlrev_b64 v[18:19], 4, v[0:1]
	v_add_co_u32 v14, vcc_lo, v30, v14
	v_add_co_ci_u32_e32 v15, vcc_lo, v31, v15, vcc_lo
	v_add_nc_u32_e32 v0, 0x60, v32
	v_add_co_u32 v18, vcc_lo, v30, v18
	v_add_co_ci_u32_e32 v19, vcc_lo, v31, v19, vcc_lo
	s_waitcnt lgkmcnt(2)
	global_store_dwordx4 v[16:17], v[2:5], off
	s_waitcnt lgkmcnt(1)
	global_store_dwordx4 v[14:15], v[6:9], off
	;; [unrolled: 2-line block ×3, first 2 shown]
	v_lshlrev_b64 v[16:17], 4, v[0:1]
	v_add_nc_u32_e32 v0, 0x70, v32
	ds_read_b128 v[2:5], v28 offset:1536
	ds_read_b128 v[6:9], v28 offset:1792
	;; [unrolled: 1-line block ×3, first 2 shown]
	v_lshlrev_b64 v[14:15], 4, v[0:1]
	v_add_nc_u32_e32 v0, 0x80, v32
	v_add_co_u32 v16, vcc_lo, v30, v16
	v_add_co_ci_u32_e32 v17, vcc_lo, v31, v17, vcc_lo
	v_lshlrev_b64 v[18:19], 4, v[0:1]
	v_add_nc_u32_e32 v0, 0x90, v32
	v_add_co_u32 v14, vcc_lo, v30, v14
	v_add_co_ci_u32_e32 v15, vcc_lo, v31, v15, vcc_lo
	v_lshlrev_b64 v[20:21], 4, v[0:1]
	v_add_nc_u32_e32 v0, 0xa0, v32
	v_add_co_u32 v18, vcc_lo, v30, v18
	s_waitcnt lgkmcnt(2)
	global_store_dwordx4 v[16:17], v[2:5], off
	s_waitcnt lgkmcnt(1)
	global_store_dwordx4 v[14:15], v[6:9], off
	v_add_co_ci_u32_e32 v19, vcc_lo, v31, v19, vcc_lo
	v_lshlrev_b64 v[6:7], 4, v[0:1]
	v_add_co_u32 v22, vcc_lo, v30, v20
	v_add_nc_u32_e32 v0, 0xb0, v32
	v_add_co_ci_u32_e32 v23, vcc_lo, v31, v21, vcc_lo
	v_add_co_u32 v24, vcc_lo, v30, v6
	s_waitcnt lgkmcnt(0)
	global_store_dwordx4 v[18:19], v[10:13], off
	ds_read_b128 v[2:5], v28 offset:2304
	v_add_co_ci_u32_e32 v25, vcc_lo, v31, v7, vcc_lo
	ds_read_b128 v[6:9], v28 offset:2560
	ds_read_b128 v[10:13], v28 offset:2816
	;; [unrolled: 1-line block ×4, first 2 shown]
	v_lshlrev_b64 v[26:27], 4, v[0:1]
	v_add_nc_u32_e32 v0, 0xc0, v32
	v_lshlrev_b64 v[28:29], 4, v[0:1]
	v_add_nc_u32_e32 v0, 0xd0, v32
	v_add_co_u32 v26, vcc_lo, v30, v26
	v_add_co_ci_u32_e32 v27, vcc_lo, v31, v27, vcc_lo
	v_lshlrev_b64 v[0:1], 4, v[0:1]
	v_add_co_u32 v28, vcc_lo, v30, v28
	v_add_co_ci_u32_e32 v29, vcc_lo, v31, v29, vcc_lo
	v_add_co_u32 v0, vcc_lo, v30, v0
	v_add_co_ci_u32_e32 v1, vcc_lo, v31, v1, vcc_lo
	s_waitcnt lgkmcnt(4)
	global_store_dwordx4 v[22:23], v[2:5], off
	s_waitcnt lgkmcnt(3)
	global_store_dwordx4 v[24:25], v[6:9], off
	;; [unrolled: 2-line block ×5, first 2 shown]
.LBB0_19:
	s_endpgm
	.section	.rodata,"a",@progbits
	.p2align	6, 0x0
	.amdhsa_kernel fft_rtc_fwd_len224_factors_7_2_2_2_2_2_wgs_64_tpt_16_halfLds_dp_ip_CI_unitstride_sbrr_C2R_dirReg
		.amdhsa_group_segment_fixed_size 0
		.amdhsa_private_segment_fixed_size 0
		.amdhsa_kernarg_size 88
		.amdhsa_user_sgpr_count 6
		.amdhsa_user_sgpr_private_segment_buffer 1
		.amdhsa_user_sgpr_dispatch_ptr 0
		.amdhsa_user_sgpr_queue_ptr 0
		.amdhsa_user_sgpr_kernarg_segment_ptr 1
		.amdhsa_user_sgpr_dispatch_id 0
		.amdhsa_user_sgpr_flat_scratch_init 0
		.amdhsa_user_sgpr_private_segment_size 0
		.amdhsa_wavefront_size32 1
		.amdhsa_uses_dynamic_stack 0
		.amdhsa_system_sgpr_private_segment_wavefront_offset 0
		.amdhsa_system_sgpr_workgroup_id_x 1
		.amdhsa_system_sgpr_workgroup_id_y 0
		.amdhsa_system_sgpr_workgroup_id_z 0
		.amdhsa_system_sgpr_workgroup_info 0
		.amdhsa_system_vgpr_workitem_id 0
		.amdhsa_next_free_vgpr 104
		.amdhsa_next_free_sgpr 24
		.amdhsa_reserve_vcc 1
		.amdhsa_reserve_flat_scratch 0
		.amdhsa_float_round_mode_32 0
		.amdhsa_float_round_mode_16_64 0
		.amdhsa_float_denorm_mode_32 3
		.amdhsa_float_denorm_mode_16_64 3
		.amdhsa_dx10_clamp 1
		.amdhsa_ieee_mode 1
		.amdhsa_fp16_overflow 0
		.amdhsa_workgroup_processor_mode 1
		.amdhsa_memory_ordered 1
		.amdhsa_forward_progress 0
		.amdhsa_shared_vgpr_count 0
		.amdhsa_exception_fp_ieee_invalid_op 0
		.amdhsa_exception_fp_denorm_src 0
		.amdhsa_exception_fp_ieee_div_zero 0
		.amdhsa_exception_fp_ieee_overflow 0
		.amdhsa_exception_fp_ieee_underflow 0
		.amdhsa_exception_fp_ieee_inexact 0
		.amdhsa_exception_int_div_zero 0
	.end_amdhsa_kernel
	.text
.Lfunc_end0:
	.size	fft_rtc_fwd_len224_factors_7_2_2_2_2_2_wgs_64_tpt_16_halfLds_dp_ip_CI_unitstride_sbrr_C2R_dirReg, .Lfunc_end0-fft_rtc_fwd_len224_factors_7_2_2_2_2_2_wgs_64_tpt_16_halfLds_dp_ip_CI_unitstride_sbrr_C2R_dirReg
                                        ; -- End function
	.section	.AMDGPU.csdata,"",@progbits
; Kernel info:
; codeLenInByte = 10668
; NumSgprs: 26
; NumVgprs: 104
; ScratchSize: 0
; MemoryBound: 0
; FloatMode: 240
; IeeeMode: 1
; LDSByteSize: 0 bytes/workgroup (compile time only)
; SGPRBlocks: 3
; VGPRBlocks: 12
; NumSGPRsForWavesPerEU: 26
; NumVGPRsForWavesPerEU: 104
; Occupancy: 9
; WaveLimiterHint : 1
; COMPUTE_PGM_RSRC2:SCRATCH_EN: 0
; COMPUTE_PGM_RSRC2:USER_SGPR: 6
; COMPUTE_PGM_RSRC2:TRAP_HANDLER: 0
; COMPUTE_PGM_RSRC2:TGID_X_EN: 1
; COMPUTE_PGM_RSRC2:TGID_Y_EN: 0
; COMPUTE_PGM_RSRC2:TGID_Z_EN: 0
; COMPUTE_PGM_RSRC2:TIDIG_COMP_CNT: 0
	.text
	.p2alignl 6, 3214868480
	.fill 48, 4, 3214868480
	.type	__hip_cuid_f5676a5fb5bd7b28,@object ; @__hip_cuid_f5676a5fb5bd7b28
	.section	.bss,"aw",@nobits
	.globl	__hip_cuid_f5676a5fb5bd7b28
__hip_cuid_f5676a5fb5bd7b28:
	.byte	0                               ; 0x0
	.size	__hip_cuid_f5676a5fb5bd7b28, 1

	.ident	"AMD clang version 19.0.0git (https://github.com/RadeonOpenCompute/llvm-project roc-6.4.0 25133 c7fe45cf4b819c5991fe208aaa96edf142730f1d)"
	.section	".note.GNU-stack","",@progbits
	.addrsig
	.addrsig_sym __hip_cuid_f5676a5fb5bd7b28
	.amdgpu_metadata
---
amdhsa.kernels:
  - .args:
      - .actual_access:  read_only
        .address_space:  global
        .offset:         0
        .size:           8
        .value_kind:     global_buffer
      - .offset:         8
        .size:           8
        .value_kind:     by_value
      - .actual_access:  read_only
        .address_space:  global
        .offset:         16
        .size:           8
        .value_kind:     global_buffer
      - .actual_access:  read_only
        .address_space:  global
        .offset:         24
        .size:           8
        .value_kind:     global_buffer
      - .offset:         32
        .size:           8
        .value_kind:     by_value
      - .actual_access:  read_only
        .address_space:  global
        .offset:         40
        .size:           8
        .value_kind:     global_buffer
      - .actual_access:  read_only
        .address_space:  global
        .offset:         48
        .size:           8
        .value_kind:     global_buffer
      - .offset:         56
        .size:           4
        .value_kind:     by_value
      - .actual_access:  read_only
        .address_space:  global
        .offset:         64
        .size:           8
        .value_kind:     global_buffer
      - .actual_access:  read_only
        .address_space:  global
        .offset:         72
        .size:           8
        .value_kind:     global_buffer
      - .address_space:  global
        .offset:         80
        .size:           8
        .value_kind:     global_buffer
    .group_segment_fixed_size: 0
    .kernarg_segment_align: 8
    .kernarg_segment_size: 88
    .language:       OpenCL C
    .language_version:
      - 2
      - 0
    .max_flat_workgroup_size: 64
    .name:           fft_rtc_fwd_len224_factors_7_2_2_2_2_2_wgs_64_tpt_16_halfLds_dp_ip_CI_unitstride_sbrr_C2R_dirReg
    .private_segment_fixed_size: 0
    .sgpr_count:     26
    .sgpr_spill_count: 0
    .symbol:         fft_rtc_fwd_len224_factors_7_2_2_2_2_2_wgs_64_tpt_16_halfLds_dp_ip_CI_unitstride_sbrr_C2R_dirReg.kd
    .uniform_work_group_size: 1
    .uses_dynamic_stack: false
    .vgpr_count:     104
    .vgpr_spill_count: 0
    .wavefront_size: 32
    .workgroup_processor_mode: 1
amdhsa.target:   amdgcn-amd-amdhsa--gfx1030
amdhsa.version:
  - 1
  - 2
...

	.end_amdgpu_metadata
